;; amdgpu-corpus repo=ROCm/rocFFT kind=compiled arch=gfx1030 opt=O3
	.text
	.amdgcn_target "amdgcn-amd-amdhsa--gfx1030"
	.amdhsa_code_object_version 6
	.protected	fft_rtc_back_len594_factors_11_3_6_3_wgs_99_tpt_99_sp_op_CI_CI_unitstride_sbrr_dirReg ; -- Begin function fft_rtc_back_len594_factors_11_3_6_3_wgs_99_tpt_99_sp_op_CI_CI_unitstride_sbrr_dirReg
	.globl	fft_rtc_back_len594_factors_11_3_6_3_wgs_99_tpt_99_sp_op_CI_CI_unitstride_sbrr_dirReg
	.p2align	8
	.type	fft_rtc_back_len594_factors_11_3_6_3_wgs_99_tpt_99_sp_op_CI_CI_unitstride_sbrr_dirReg,@function
fft_rtc_back_len594_factors_11_3_6_3_wgs_99_tpt_99_sp_op_CI_CI_unitstride_sbrr_dirReg: ; @fft_rtc_back_len594_factors_11_3_6_3_wgs_99_tpt_99_sp_op_CI_CI_unitstride_sbrr_dirReg
; %bb.0:
	s_clause 0x2
	s_load_dwordx4 s[12:15], s[4:5], 0x0
	s_load_dwordx4 s[8:11], s[4:5], 0x58
	;; [unrolled: 1-line block ×3, first 2 shown]
	v_mul_u32_u24_e32 v1, 0x296, v0
	v_mov_b32_e32 v5, 0
	v_mov_b32_e32 v8, 0
	;; [unrolled: 1-line block ×3, first 2 shown]
	v_add_nc_u32_sdwa v10, s6, v1 dst_sel:DWORD dst_unused:UNUSED_PAD src0_sel:DWORD src1_sel:WORD_1
	v_mov_b32_e32 v11, v5
	s_waitcnt lgkmcnt(0)
	v_cmp_lt_u64_e64 s0, s[14:15], 2
	s_and_b32 vcc_lo, exec_lo, s0
	s_cbranch_vccnz .LBB0_8
; %bb.1:
	s_load_dwordx2 s[0:1], s[4:5], 0x10
	v_mov_b32_e32 v8, 0
	v_mov_b32_e32 v9, 0
	s_add_u32 s2, s18, 8
	s_addc_u32 s3, s19, 0
	v_mov_b32_e32 v1, v8
	s_add_u32 s6, s16, 8
	v_mov_b32_e32 v2, v9
	s_addc_u32 s7, s17, 0
	s_mov_b64 s[22:23], 1
	s_waitcnt lgkmcnt(0)
	s_add_u32 s20, s0, 8
	s_addc_u32 s21, s1, 0
.LBB0_2:                                ; =>This Inner Loop Header: Depth=1
	s_load_dwordx2 s[24:25], s[20:21], 0x0
                                        ; implicit-def: $vgpr3_vgpr4
	s_mov_b32 s0, exec_lo
	s_waitcnt lgkmcnt(0)
	v_or_b32_e32 v6, s25, v11
	v_cmpx_ne_u64_e32 0, v[5:6]
	s_xor_b32 s1, exec_lo, s0
	s_cbranch_execz .LBB0_4
; %bb.3:                                ;   in Loop: Header=BB0_2 Depth=1
	v_cvt_f32_u32_e32 v3, s24
	v_cvt_f32_u32_e32 v4, s25
	s_sub_u32 s0, 0, s24
	s_subb_u32 s26, 0, s25
	v_fmac_f32_e32 v3, 0x4f800000, v4
	v_rcp_f32_e32 v3, v3
	v_mul_f32_e32 v3, 0x5f7ffffc, v3
	v_mul_f32_e32 v4, 0x2f800000, v3
	v_trunc_f32_e32 v4, v4
	v_fmac_f32_e32 v3, 0xcf800000, v4
	v_cvt_u32_f32_e32 v4, v4
	v_cvt_u32_f32_e32 v3, v3
	v_mul_lo_u32 v6, s0, v4
	v_mul_hi_u32 v7, s0, v3
	v_mul_lo_u32 v12, s26, v3
	v_add_nc_u32_e32 v6, v7, v6
	v_mul_lo_u32 v7, s0, v3
	v_add_nc_u32_e32 v6, v6, v12
	v_mul_hi_u32 v12, v3, v7
	v_mul_lo_u32 v13, v3, v6
	v_mul_hi_u32 v14, v3, v6
	v_mul_hi_u32 v15, v4, v7
	v_mul_lo_u32 v7, v4, v7
	v_mul_hi_u32 v16, v4, v6
	v_mul_lo_u32 v6, v4, v6
	v_add_co_u32 v12, vcc_lo, v12, v13
	v_add_co_ci_u32_e32 v13, vcc_lo, 0, v14, vcc_lo
	v_add_co_u32 v7, vcc_lo, v12, v7
	v_add_co_ci_u32_e32 v7, vcc_lo, v13, v15, vcc_lo
	v_add_co_ci_u32_e32 v12, vcc_lo, 0, v16, vcc_lo
	v_add_co_u32 v6, vcc_lo, v7, v6
	v_add_co_ci_u32_e32 v7, vcc_lo, 0, v12, vcc_lo
	v_add_co_u32 v3, vcc_lo, v3, v6
	v_add_co_ci_u32_e32 v4, vcc_lo, v4, v7, vcc_lo
	v_mul_hi_u32 v6, s0, v3
	v_mul_lo_u32 v12, s26, v3
	v_mul_lo_u32 v7, s0, v4
	v_add_nc_u32_e32 v6, v6, v7
	v_mul_lo_u32 v7, s0, v3
	v_add_nc_u32_e32 v6, v6, v12
	v_mul_hi_u32 v12, v3, v7
	v_mul_lo_u32 v13, v3, v6
	v_mul_hi_u32 v14, v3, v6
	v_mul_hi_u32 v15, v4, v7
	v_mul_lo_u32 v7, v4, v7
	v_mul_hi_u32 v16, v4, v6
	v_mul_lo_u32 v6, v4, v6
	v_add_co_u32 v12, vcc_lo, v12, v13
	v_add_co_ci_u32_e32 v13, vcc_lo, 0, v14, vcc_lo
	v_add_co_u32 v7, vcc_lo, v12, v7
	v_add_co_ci_u32_e32 v7, vcc_lo, v13, v15, vcc_lo
	v_add_co_ci_u32_e32 v12, vcc_lo, 0, v16, vcc_lo
	v_add_co_u32 v6, vcc_lo, v7, v6
	v_add_co_ci_u32_e32 v7, vcc_lo, 0, v12, vcc_lo
	v_add_co_u32 v6, vcc_lo, v3, v6
	v_add_co_ci_u32_e32 v12, vcc_lo, v4, v7, vcc_lo
	v_mul_hi_u32 v14, v10, v6
	v_mad_u64_u32 v[6:7], null, v11, v6, 0
	v_mad_u64_u32 v[3:4], null, v10, v12, 0
	;; [unrolled: 1-line block ×3, first 2 shown]
	v_add_co_u32 v3, vcc_lo, v14, v3
	v_add_co_ci_u32_e32 v4, vcc_lo, 0, v4, vcc_lo
	v_add_co_u32 v3, vcc_lo, v3, v6
	v_add_co_ci_u32_e32 v3, vcc_lo, v4, v7, vcc_lo
	v_add_co_ci_u32_e32 v4, vcc_lo, 0, v13, vcc_lo
	v_add_co_u32 v6, vcc_lo, v3, v12
	v_add_co_ci_u32_e32 v7, vcc_lo, 0, v4, vcc_lo
	v_mul_lo_u32 v12, s25, v6
	v_mad_u64_u32 v[3:4], null, s24, v6, 0
	v_mul_lo_u32 v13, s24, v7
	v_sub_co_u32 v3, vcc_lo, v10, v3
	v_add3_u32 v4, v4, v13, v12
	v_sub_nc_u32_e32 v12, v11, v4
	v_subrev_co_ci_u32_e64 v12, s0, s25, v12, vcc_lo
	v_add_co_u32 v13, s0, v6, 2
	v_add_co_ci_u32_e64 v14, s0, 0, v7, s0
	v_sub_co_u32 v15, s0, v3, s24
	v_sub_co_ci_u32_e32 v4, vcc_lo, v11, v4, vcc_lo
	v_subrev_co_ci_u32_e64 v12, s0, 0, v12, s0
	v_cmp_le_u32_e32 vcc_lo, s24, v15
	v_cmp_eq_u32_e64 s0, s25, v4
	v_cndmask_b32_e64 v15, 0, -1, vcc_lo
	v_cmp_le_u32_e32 vcc_lo, s25, v12
	v_cndmask_b32_e64 v16, 0, -1, vcc_lo
	v_cmp_le_u32_e32 vcc_lo, s24, v3
	;; [unrolled: 2-line block ×3, first 2 shown]
	v_cndmask_b32_e64 v17, 0, -1, vcc_lo
	v_cmp_eq_u32_e32 vcc_lo, s25, v12
	v_cndmask_b32_e64 v3, v17, v3, s0
	v_cndmask_b32_e32 v12, v16, v15, vcc_lo
	v_add_co_u32 v15, vcc_lo, v6, 1
	v_add_co_ci_u32_e32 v16, vcc_lo, 0, v7, vcc_lo
	v_cmp_ne_u32_e32 vcc_lo, 0, v12
	v_cndmask_b32_e32 v4, v16, v14, vcc_lo
	v_cndmask_b32_e32 v12, v15, v13, vcc_lo
	v_cmp_ne_u32_e32 vcc_lo, 0, v3
	v_cndmask_b32_e32 v4, v7, v4, vcc_lo
	v_cndmask_b32_e32 v3, v6, v12, vcc_lo
.LBB0_4:                                ;   in Loop: Header=BB0_2 Depth=1
	s_andn2_saveexec_b32 s0, s1
	s_cbranch_execz .LBB0_6
; %bb.5:                                ;   in Loop: Header=BB0_2 Depth=1
	v_cvt_f32_u32_e32 v3, s24
	s_sub_i32 s1, 0, s24
	v_rcp_iflag_f32_e32 v3, v3
	v_mul_f32_e32 v3, 0x4f7ffffe, v3
	v_cvt_u32_f32_e32 v3, v3
	v_mul_lo_u32 v4, s1, v3
	v_mul_hi_u32 v4, v3, v4
	v_add_nc_u32_e32 v3, v3, v4
	v_mul_hi_u32 v3, v10, v3
	v_mul_lo_u32 v4, v3, s24
	v_add_nc_u32_e32 v6, 1, v3
	v_sub_nc_u32_e32 v4, v10, v4
	v_subrev_nc_u32_e32 v7, s24, v4
	v_cmp_le_u32_e32 vcc_lo, s24, v4
	v_cndmask_b32_e32 v4, v4, v7, vcc_lo
	v_cndmask_b32_e32 v3, v3, v6, vcc_lo
	v_cmp_le_u32_e32 vcc_lo, s24, v4
	v_add_nc_u32_e32 v6, 1, v3
	v_mov_b32_e32 v4, v5
	v_cndmask_b32_e32 v3, v3, v6, vcc_lo
.LBB0_6:                                ;   in Loop: Header=BB0_2 Depth=1
	s_or_b32 exec_lo, exec_lo, s0
	v_mul_lo_u32 v12, v4, s24
	v_mul_lo_u32 v13, v3, s25
	s_load_dwordx2 s[0:1], s[6:7], 0x0
	v_mad_u64_u32 v[6:7], null, v3, s24, 0
	s_load_dwordx2 s[24:25], s[2:3], 0x0
	s_add_u32 s22, s22, 1
	s_addc_u32 s23, s23, 0
	s_add_u32 s2, s2, 8
	s_addc_u32 s3, s3, 0
	s_add_u32 s6, s6, 8
	v_add3_u32 v7, v7, v13, v12
	v_sub_co_u32 v6, vcc_lo, v10, v6
	s_addc_u32 s7, s7, 0
	s_add_u32 s20, s20, 8
	v_sub_co_ci_u32_e32 v7, vcc_lo, v11, v7, vcc_lo
	s_addc_u32 s21, s21, 0
	s_waitcnt lgkmcnt(0)
	v_mul_lo_u32 v10, s0, v7
	v_mul_lo_u32 v11, s1, v6
	v_mad_u64_u32 v[8:9], null, s0, v6, v[8:9]
	v_mul_lo_u32 v7, s24, v7
	v_mul_lo_u32 v12, s25, v6
	v_mad_u64_u32 v[1:2], null, s24, v6, v[1:2]
	v_cmp_ge_u64_e64 s0, s[22:23], s[14:15]
	v_add3_u32 v9, v11, v9, v10
	v_add3_u32 v2, v12, v2, v7
	s_and_b32 vcc_lo, exec_lo, s0
	s_cbranch_vccnz .LBB0_9
; %bb.7:                                ;   in Loop: Header=BB0_2 Depth=1
	v_mov_b32_e32 v11, v4
	v_mov_b32_e32 v10, v3
	s_branch .LBB0_2
.LBB0_8:
	v_mov_b32_e32 v1, v8
	v_mov_b32_e32 v3, v10
	;; [unrolled: 1-line block ×4, first 2 shown]
.LBB0_9:
	s_load_dwordx2 s[0:1], s[4:5], 0x28
	v_mul_hi_u32 v5, 0x295fad5, v0
	s_lshl_b64 s[4:5], s[14:15], 3
	v_mov_b32_e32 v7, 0
	v_mov_b32_e32 v6, 0
	s_add_u32 s2, s18, s4
	s_addc_u32 s3, s19, s5
                                        ; implicit-def: $vgpr23
                                        ; implicit-def: $vgpr19
                                        ; implicit-def: $vgpr17
                                        ; implicit-def: $vgpr29
                                        ; implicit-def: $vgpr25
                                        ; implicit-def: $vgpr11
                                        ; implicit-def: $vgpr13
                                        ; implicit-def: $vgpr15
                                        ; implicit-def: $vgpr21
                                        ; implicit-def: $vgpr27
	v_mul_u32_u24_e32 v5, 0x63, v5
	v_sub_nc_u32_e32 v5, v0, v5
	s_waitcnt lgkmcnt(0)
	v_cmp_gt_u64_e32 vcc_lo, s[0:1], v[3:4]
	v_cmp_gt_u32_e64 s0, 54, v5
	s_and_b32 s1, vcc_lo, s0
	s_and_saveexec_b32 s6, s1
	s_cbranch_execz .LBB0_11
; %bb.10:
	s_add_u32 s4, s16, s4
	s_addc_u32 s5, s17, s5
	s_load_dwordx2 s[4:5], s[4:5], 0x0
	s_waitcnt lgkmcnt(0)
	v_mul_lo_u32 v0, s5, v3
	v_mul_lo_u32 v10, s4, v4
	v_mad_u64_u32 v[6:7], null, s4, v3, 0
	v_add3_u32 v7, v7, v10, v0
	v_lshlrev_b64 v[10:11], 3, v[6:7]
	v_mov_b32_e32 v6, 0
	v_lshlrev_b64 v[7:8], 3, v[8:9]
	v_add_co_u32 v0, s1, s8, v10
	v_add_co_ci_u32_e64 v11, s1, s9, v11, s1
	v_lshlrev_b64 v[9:10], 3, v[5:6]
	v_add_co_u32 v0, s1, v0, v7
	v_add_co_ci_u32_e64 v6, s1, v11, v8, s1
	v_add_co_u32 v8, s1, v0, v9
	v_add_co_ci_u32_e64 v9, s1, v6, v10, s1
	s_clause 0x3
	global_load_dwordx2 v[6:7], v[8:9], off
	global_load_dwordx2 v[22:23], v[8:9], off offset:432
	global_load_dwordx2 v[18:19], v[8:9], off offset:864
	;; [unrolled: 1-line block ×3, first 2 shown]
	v_add_co_u32 v10, s1, 0x800, v8
	v_add_co_ci_u32_e64 v11, s1, 0, v9, s1
	v_add_co_u32 v30, s1, 0x1000, v8
	v_add_co_ci_u32_e64 v31, s1, 0, v9, s1
	s_clause 0x6
	global_load_dwordx2 v[28:29], v[8:9], off offset:1728
	global_load_dwordx2 v[24:25], v[10:11], off offset:112
	;; [unrolled: 1-line block ×7, first 2 shown]
.LBB0_11:
	s_or_b32 exec_lo, exec_lo, s6
	s_and_saveexec_b32 s1, s0
	s_cbranch_execz .LBB0_13
; %bb.12:
	s_waitcnt vmcnt(0)
	v_sub_f32_e32 v39, v22, v10
	v_add_f32_e32 v32, v23, v11
	v_sub_f32_e32 v40, v18, v12
	v_add_f32_e32 v31, v19, v13
	v_sub_f32_e32 v42, v16, v14
	v_mul_f32_e32 v41, 0xbe903f40, v39
	v_sub_f32_e32 v45, v23, v11
	v_mul_f32_e32 v44, 0x3f0a6770, v40
	v_add_f32_e32 v0, v17, v15
	v_add_f32_e32 v33, v22, v10
	v_fma_f32 v8, 0xbf75a155, v32, -v41
	v_mul_f32_e32 v46, 0xbf4178ce, v42
	v_fma_f32 v9, 0x3f575c64, v31, -v44
	v_mul_f32_e32 v47, 0xbe903f40, v45
	v_sub_f32_e32 v48, v19, v13
	v_add_f32_e32 v8, v7, v8
	v_add_f32_e32 v34, v18, v12
	v_fma_f32 v35, 0xbf27a4f4, v0, -v46
	v_sub_f32_e32 v50, v17, v15
	v_mul_f32_e32 v49, 0x3f0a6770, v48
	v_add_f32_e32 v8, v8, v9
	v_fmamk_f32 v9, v33, 0xbf75a155, v47
	v_sub_f32_e32 v43, v28, v20
	v_mul_f32_e32 v52, 0xbf4178ce, v50
	v_fmamk_f32 v36, v34, 0x3f575c64, v49
	v_add_f32_e32 v8, v8, v35
	v_add_f32_e32 v9, v6, v9
	;; [unrolled: 1-line block ×3, first 2 shown]
	v_sub_f32_e32 v54, v29, v21
	v_add_f32_e32 v30, v29, v21
	v_mul_f32_e32 v51, 0x3f68dda4, v43
	v_sub_f32_e32 v55, v24, v26
	v_add_f32_e32 v9, v9, v36
	v_fmamk_f32 v38, v35, 0xbf27a4f4, v52
	v_add_f32_e32 v37, v28, v20
	v_mul_f32_e32 v56, 0x3f68dda4, v54
	v_sub_f32_e32 v57, v25, v27
	v_mul_f32_e32 v60, 0xbf4178ce, v39
	v_fma_f32 v53, 0x3ed4b147, v30, -v51
	v_add_f32_e32 v36, v25, v27
	v_mul_f32_e32 v58, 0xbf7d64f0, v55
	v_add_f32_e32 v9, v9, v38
	v_fmamk_f32 v59, v37, 0x3ed4b147, v56
	v_add_f32_e32 v38, v24, v26
	v_mul_f32_e32 v61, 0xbf7d64f0, v57
	v_fma_f32 v62, 0xbf27a4f4, v32, -v60
	v_mul_f32_e32 v63, 0x3f7d64f0, v40
	v_add_f32_e32 v8, v8, v53
	v_fma_f32 v53, 0xbe11bafb, v36, -v58
	v_add_f32_e32 v59, v9, v59
	v_fmamk_f32 v64, v38, 0xbe11bafb, v61
	v_add_f32_e32 v62, v7, v62
	v_fma_f32 v65, 0xbe11bafb, v31, -v63
	v_add_f32_e32 v9, v8, v53
	v_add_f32_e32 v23, v7, v23
	;; [unrolled: 1-line block ×3, first 2 shown]
	v_mul_f32_e32 v53, 0xbf0a6770, v42
	v_add_f32_e32 v59, v62, v65
	v_mul_f32_e32 v62, 0xbf4178ce, v45
	v_add_f32_e32 v22, v6, v22
	v_add_f32_e32 v19, v23, v19
	v_fma_f32 v23, 0x3f575c64, v0, -v53
	v_mul_f32_e32 v64, 0xbe903f40, v43
	v_fmamk_f32 v65, v33, 0xbf27a4f4, v62
	v_mul_f32_e32 v66, 0x3f7d64f0, v48
	v_add_f32_e32 v18, v22, v18
	v_add_f32_e32 v22, v59, v23
	v_fma_f32 v23, 0xbf75a155, v30, -v64
	v_add_f32_e32 v59, v6, v65
	v_fmamk_f32 v65, v34, 0xbe11bafb, v66
	v_mul_f32_e32 v67, 0xbf0a6770, v50
	v_add_f32_e32 v17, v19, v17
	v_add_f32_e32 v16, v18, v16
	;; [unrolled: 1-line block ×4, first 2 shown]
	v_fmamk_f32 v22, v35, 0x3f575c64, v67
	v_mul_f32_e32 v23, 0xbe903f40, v54
	v_add_f32_e32 v17, v17, v29
	v_mul_f32_e32 v29, 0x3f68dda4, v55
	v_add_f32_e32 v16, v16, v28
	v_add_f32_e32 v19, v19, v22
	v_fmamk_f32 v22, v37, 0xbf75a155, v23
	v_add_f32_e32 v25, v17, v25
	v_fma_f32 v17, 0x3ed4b147, v36, -v29
	v_mul_f32_e32 v28, 0x3f68dda4, v57
	v_add_f32_e32 v16, v16, v24
	v_add_f32_e32 v19, v19, v22
	v_mul_f32_e32 v22, 0xbf7d64f0, v39
	v_add_f32_e32 v17, v18, v17
	v_fmamk_f32 v18, v38, 0x3ed4b147, v28
	v_add_f32_e32 v24, v25, v27
	v_add_f32_e32 v25, v16, v26
	v_fma_f32 v26, 0xbe11bafb, v32, -v22
	v_mul_f32_e32 v27, 0x3e903f40, v40
	v_add_f32_e32 v16, v19, v18
	v_add_f32_e32 v18, v21, v24
	;; [unrolled: 1-line block ×4, first 2 shown]
	v_fma_f32 v21, 0xbf75a155, v31, -v27
	v_mul_f32_e32 v25, 0xbf7d64f0, v45
	v_mul_f32_e32 v24, 0x3f68dda4, v42
	v_add_f32_e32 v15, v15, v18
	v_add_f32_e32 v14, v14, v19
	;; [unrolled: 1-line block ×3, first 2 shown]
	v_fmamk_f32 v20, v33, 0xbe11bafb, v25
	v_mul_f32_e32 v26, 0x3e903f40, v48
	v_fma_f32 v19, 0x3ed4b147, v0, -v24
	v_mul_f32_e32 v59, 0xbf0a6770, v43
	v_add_f32_e32 v13, v13, v15
	v_add_f32_e32 v12, v12, v14
	;; [unrolled: 1-line block ×3, first 2 shown]
	v_fmamk_f32 v15, v34, 0xbf75a155, v26
	v_mul_f32_e32 v65, 0x3f68dda4, v50
	v_add_f32_e32 v18, v18, v19
	v_fma_f32 v19, 0x3f575c64, v30, -v59
	v_add_f32_e32 v11, v11, v13
	v_add_f32_e32 v13, v14, v15
	v_fmamk_f32 v14, v35, 0x3ed4b147, v65
	v_mul_f32_e32 v68, 0xbf0a6770, v54
	v_mul_f32_e32 v69, 0xbf68dda4, v39
	;; [unrolled: 1-line block ×3, first 2 shown]
	v_add_f32_e32 v10, v10, v12
	v_add_f32_e32 v12, v18, v19
	;; [unrolled: 1-line block ×3, first 2 shown]
	v_fmamk_f32 v14, v37, 0x3f575c64, v68
	v_fma_f32 v15, 0x3ed4b147, v32, -v69
	v_mul_f32_e32 v71, 0xbf4178ce, v40
	v_fmamk_f32 v18, v33, 0x3ed4b147, v73
	v_mul_f32_e32 v75, 0xbf4178ce, v48
	v_mul_f32_e32 v70, 0xbf4178ce, v55
	v_add_f32_e32 v14, v13, v14
	v_add_f32_e32 v13, v7, v15
	v_fma_f32 v15, 0xbf27a4f4, v31, -v71
	v_mul_f32_e32 v74, 0x3e903f40, v42
	v_add_f32_e32 v18, v6, v18
	v_fmamk_f32 v20, v34, 0xbf27a4f4, v75
	v_mul_f32_e32 v76, 0x3e903f40, v50
	v_mul_f32_e32 v72, 0xbf4178ce, v57
	v_fma_f32 v19, 0xbf27a4f4, v36, -v70
	v_add_f32_e32 v13, v13, v15
	v_fma_f32 v15, 0xbf75a155, v0, -v74
	v_mul_f32_e32 v77, 0x3f7d64f0, v43
	v_add_f32_e32 v18, v18, v20
	v_fmamk_f32 v20, v35, 0xbf75a155, v76
	v_mul_f32_e32 v78, 0x3f7d64f0, v54
	v_fmamk_f32 v21, v38, 0xbf27a4f4, v72
	v_add_f32_e32 v15, v13, v15
	v_fma_f32 v79, 0xbe11bafb, v30, -v77
	v_mul_f32_e32 v80, 0x3f0a6770, v55
	v_add_f32_e32 v13, v12, v19
	v_add_f32_e32 v18, v18, v20
	v_fmamk_f32 v19, v37, 0xbe11bafb, v78
	v_mul_f32_e32 v39, 0xbf0a6770, v39
	v_mul_f32_e32 v45, 0xbf0a6770, v45
	v_add_f32_e32 v15, v15, v79
	v_fma_f32 v20, 0x3f575c64, v36, -v80
	v_add_f32_e32 v12, v14, v21
	v_add_f32_e32 v14, v18, v19
	v_fma_f32 v18, 0x3f575c64, v32, -v39
	v_mul_f32_e32 v40, 0xbf68dda4, v40
	v_fmamk_f32 v19, v33, 0x3f575c64, v45
	v_mul_f32_e32 v48, 0xbf68dda4, v48
	v_add_f32_e32 v15, v15, v20
	v_add_f32_e32 v18, v7, v18
	v_fma_f32 v20, 0x3ed4b147, v31, -v40
	v_mul_f32_e32 v42, 0xbf7d64f0, v42
	v_add_f32_e32 v19, v6, v19
	v_fmamk_f32 v21, v34, 0x3ed4b147, v48
	v_mul_f32_e32 v50, 0xbf7d64f0, v50
	v_add_f32_e32 v18, v18, v20
	v_fma_f32 v20, 0xbe11bafb, v0, -v42
	v_mul_f32_e32 v43, 0xbf4178ce, v43
	v_add_f32_e32 v19, v19, v21
	v_fmamk_f32 v21, v35, 0xbe11bafb, v50
	v_mul_f32_e32 v54, 0xbf4178ce, v54
	v_add_f32_e32 v18, v18, v20
	v_fma_f32 v20, 0xbf27a4f4, v30, -v43
	v_fmac_f32_e32 v41, 0xbf75a155, v32
	v_add_f32_e32 v19, v19, v21
	v_fmamk_f32 v21, v37, 0xbf27a4f4, v54
	v_fma_f32 v47, 0xbf75a155, v33, -v47
	v_add_f32_e32 v18, v18, v20
	v_fmac_f32_e32 v44, 0x3f575c64, v31
	v_fmac_f32_e32 v46, 0xbf27a4f4, v0
	v_add_f32_e32 v20, v19, v21
	v_add_f32_e32 v19, v7, v41
	;; [unrolled: 1-line block ×3, first 2 shown]
	v_fma_f32 v41, 0x3f575c64, v34, -v49
	v_mul_f32_e32 v47, 0xbe903f40, v55
	v_mul_f32_e32 v49, 0xbe903f40, v57
	v_add_f32_e32 v19, v19, v44
	v_fmac_f32_e32 v51, 0x3ed4b147, v30
	v_add_f32_e32 v21, v21, v41
	v_fma_f32 v41, 0xbf27a4f4, v35, -v52
	v_fma_f32 v44, 0xbf75a155, v36, -v47
	v_fmamk_f32 v52, v38, 0xbf75a155, v49
	v_add_f32_e32 v46, v19, v46
	v_fmac_f32_e32 v60, 0xbf27a4f4, v32
	v_add_f32_e32 v21, v21, v41
	v_fma_f32 v41, 0x3ed4b147, v37, -v56
	v_fmac_f32_e32 v22, 0xbe11bafb, v32
	v_add_f32_e32 v19, v18, v44
	v_add_f32_e32 v18, v20, v52
	;; [unrolled: 1-line block ×4, first 2 shown]
	v_fma_f32 v21, 0xbf27a4f4, v33, -v62
	v_add_f32_e32 v44, v7, v60
	v_fmac_f32_e32 v63, 0xbe11bafb, v31
	v_fmac_f32_e32 v58, 0xbe11bafb, v36
	v_fma_f32 v46, 0xbe11bafb, v38, -v61
	v_add_f32_e32 v51, v6, v21
	v_fma_f32 v52, 0xbe11bafb, v34, -v66
	v_fma_f32 v25, 0xbe11bafb, v33, -v25
	v_add_f32_e32 v22, v7, v22
	v_fmac_f32_e32 v27, 0xbf75a155, v31
	v_add_f32_e32 v44, v44, v63
	v_fmac_f32_e32 v53, 0x3f575c64, v0
	v_add_f32_e32 v21, v20, v58
	v_add_f32_e32 v20, v41, v46
	;; [unrolled: 1-line block ×3, first 2 shown]
	v_fma_f32 v46, 0x3f575c64, v35, -v67
	v_add_f32_e32 v25, v6, v25
	v_fma_f32 v26, 0xbf75a155, v34, -v26
	v_add_f32_e32 v22, v22, v27
	v_fmac_f32_e32 v69, 0x3ed4b147, v32
	v_fmac_f32_e32 v24, 0x3ed4b147, v0
	v_add_f32_e32 v44, v44, v53
	v_fmac_f32_e32 v64, 0xbf75a155, v30
	v_add_f32_e32 v41, v41, v46
	v_fma_f32 v23, 0xbf75a155, v37, -v23
	v_add_f32_e32 v25, v25, v26
	v_fma_f32 v27, 0x3ed4b147, v35, -v65
	v_fma_f32 v26, 0x3ed4b147, v38, -v28
	v_add_f32_e32 v28, v7, v69
	v_fmac_f32_e32 v71, 0xbf27a4f4, v31
	v_add_f32_e32 v22, v22, v24
	v_fmac_f32_e32 v59, 0x3f575c64, v30
	;; [unrolled: 2-line block ×3, first 2 shown]
	v_add_f32_e32 v41, v41, v23
	v_add_f32_e32 v24, v25, v27
	v_fma_f32 v25, 0x3f575c64, v37, -v68
	v_add_f32_e32 v27, v28, v71
	v_add_f32_e32 v28, v22, v59
	v_fmac_f32_e32 v70, 0xbf27a4f4, v36
	v_add_f32_e32 v23, v44, v29
	v_add_f32_e32 v24, v24, v25
	v_fma_f32 v29, 0xbf27a4f4, v38, -v72
	v_add_f32_e32 v22, v41, v26
	v_fma_f32 v26, 0x3ed4b147, v33, -v73
	v_add_f32_e32 v25, v28, v70
	v_fmac_f32_e32 v39, 0x3f575c64, v32
	v_fma_f32 v28, 0x3f575c64, v33, -v45
	v_add_f32_e32 v24, v24, v29
	v_add_f32_e32 v26, v6, v26
	v_fma_f32 v29, 0xbf27a4f4, v34, -v75
	v_add_f32_e32 v7, v7, v39
	v_fmac_f32_e32 v40, 0x3ed4b147, v31
	v_add_f32_e32 v6, v6, v28
	v_fma_f32 v28, 0x3ed4b147, v34, -v48
	v_fmac_f32_e32 v74, 0xbf75a155, v0
	v_add_f32_e32 v26, v26, v29
	v_fma_f32 v29, 0xbf75a155, v35, -v76
	v_add_f32_e32 v7, v7, v40
	v_fmac_f32_e32 v42, 0xbe11bafb, v0
	v_add_f32_e32 v0, v6, v28
	v_fma_f32 v6, 0xbe11bafb, v35, -v50
	v_mul_f32_e32 v79, 0x3f0a6770, v57
	v_add_f32_e32 v27, v27, v74
	v_fmac_f32_e32 v77, 0xbe11bafb, v30
	v_add_f32_e32 v26, v26, v29
	v_fma_f32 v28, 0xbe11bafb, v37, -v78
	v_add_f32_e32 v7, v7, v42
	v_fmac_f32_e32 v43, 0xbf27a4f4, v30
	v_add_f32_e32 v0, v0, v6
	v_fma_f32 v6, 0xbf27a4f4, v37, -v54
	v_fmamk_f32 v81, v38, 0x3f575c64, v79
	v_add_f32_e32 v27, v27, v77
	v_fmac_f32_e32 v80, 0x3f575c64, v36
	v_add_f32_e32 v26, v26, v28
	v_fma_f32 v28, 0x3f575c64, v38, -v79
	v_add_f32_e32 v29, v7, v43
	v_fmac_f32_e32 v47, 0xbf75a155, v36
	v_add_f32_e32 v0, v0, v6
	v_fma_f32 v30, 0xbf75a155, v38, -v49
	v_mad_u32_u24 v31, 0x58, v5, 0
	v_add_f32_e32 v14, v14, v81
	v_add_f32_e32 v7, v27, v80
	;; [unrolled: 1-line block ×5, first 2 shown]
	ds_write2_b64 v31, v[10:11], v[18:19] offset1:1
	ds_write2_b64 v31, v[14:15], v[12:13] offset0:2 offset1:3
	ds_write2_b64 v31, v[16:17], v[8:9] offset0:4 offset1:5
	;; [unrolled: 1-line block ×4, first 2 shown]
	ds_write_b64 v31, v[26:27] offset:80
.LBB0_13:
	s_or_b32 exec_lo, exec_lo, s1
	s_waitcnt vmcnt(10)
	v_and_b32_e32 v6, 0xff, v5
	v_add_nc_u32_e32 v0, 0x63, v5
	s_load_dwordx2 s[0:1], s[2:3], 0x0
	s_waitcnt vmcnt(0) lgkmcnt(0)
	s_barrier
	v_mul_lo_u16 v7, 0x75, v6
	v_and_b32_e32 v8, 0xff, v0
	buffer_gl0_inv
	v_mul_lo_u16 v6, 0xf9, v6
	v_mov_b32_e32 v34, 3
	v_lshrrev_b16 v7, 8, v7
	v_mul_lo_u16 v8, 0x75, v8
	v_mov_b32_e32 v32, 5
	v_lshrrev_b16 v31, 13, v6
	v_sub_nc_u16 v9, v5, v7
	v_lshrrev_b16 v8, 8, v8
	v_mul_lo_u16 v6, v31, 33
	v_lshrrev_b16 v9, 1, v9
	v_sub_nc_u16 v10, v0, v8
	v_sub_nc_u16 v33, v5, v6
	v_mov_b32_e32 v6, 0x108
	v_and_b32_e32 v9, 0x7f, v9
	v_lshrrev_b16 v10, 1, v10
	v_mul_u32_u24_sdwa v32, v33, v32 dst_sel:DWORD dst_unused:UNUSED_PAD src0_sel:BYTE_0 src1_sel:DWORD
	v_add_nc_u16 v7, v9, v7
	v_and_b32_e32 v9, 0x7f, v10
	v_lshlrev_b32_e32 v32, 3, v32
	v_lshrrev_b16 v27, 3, v7
	v_add_nc_u16 v7, v9, v8
	v_mul_lo_u16 v8, v27, 11
	v_lshrrev_b16 v29, 3, v7
	v_mov_b32_e32 v7, 4
	v_mul_u32_u24_sdwa v35, v27, v6 dst_sel:DWORD dst_unused:UNUSED_PAD src0_sel:WORD_0 src1_sel:DWORD
	v_sub_nc_u16 v28, v5, v8
	v_mul_lo_u16 v8, v29, 11
	v_mul_u32_u24_sdwa v6, v29, v6 dst_sel:DWORD dst_unused:UNUSED_PAD src0_sel:WORD_0 src1_sel:DWORD
	v_lshlrev_b32_sdwa v9, v7, v28 dst_sel:DWORD dst_unused:UNUSED_PAD src0_sel:DWORD src1_sel:BYTE_0
	v_sub_nc_u16 v30, v0, v8
	v_lshlrev_b32_sdwa v36, v34, v28 dst_sel:DWORD dst_unused:UNUSED_PAD src0_sel:DWORD src1_sel:BYTE_0
	global_load_dwordx4 v[9:12], v9, s[12:13]
	v_lshlrev_b32_sdwa v7, v7, v30 dst_sel:DWORD dst_unused:UNUSED_PAD src0_sel:DWORD src1_sel:BYTE_0
	v_add3_u32 v29, 0, v35, v36
	v_lshlrev_b32_sdwa v30, v34, v30 dst_sel:DWORD dst_unused:UNUSED_PAD src0_sel:DWORD src1_sel:BYTE_0
	global_load_dwordx4 v[13:16], v7, s[12:13]
	v_lshl_add_u32 v7, v5, 3, 0
	v_add3_u32 v6, 0, v6, v30
	v_add_nc_u32_e32 v8, 0x800, v7
	ds_read2_b64 v[17:20], v7 offset0:99 offset1:198
	ds_read2_b64 v[21:24], v8 offset0:41 offset1:140
	ds_read_b64 v[25:26], v7 offset:3960
	ds_read2_b32 v[27:28], v7 offset1:1
	s_waitcnt vmcnt(0) lgkmcnt(0)
	s_barrier
	buffer_gl0_inv
	v_mul_f32_e32 v35, v10, v20
	v_mul_f32_e32 v10, v10, v19
	;; [unrolled: 1-line block ×4, first 2 shown]
	v_fmac_f32_e32 v35, v9, v19
	v_fma_f32 v9, v9, v20, -v10
	v_mul_f32_e32 v19, v14, v22
	v_mul_f32_e32 v10, v14, v21
	v_mul_f32_e32 v14, v16, v26
	v_mul_f32_e32 v16, v16, v25
	v_fmac_f32_e32 v36, v11, v23
	v_fma_f32 v11, v11, v24, -v12
	v_fmac_f32_e32 v19, v13, v21
	v_fma_f32 v12, v13, v22, -v10
	;; [unrolled: 2-line block ×3, first 2 shown]
	v_add_f32_e32 v10, v35, v27
	v_add_f32_e32 v20, v28, v9
	;; [unrolled: 1-line block ×4, first 2 shown]
	v_sub_f32_e32 v16, v9, v11
	v_add_f32_e32 v9, v10, v36
	v_add_f32_e32 v10, v20, v11
	;; [unrolled: 1-line block ×4, first 2 shown]
	v_sub_f32_e32 v22, v35, v36
	v_fma_f32 v27, -0.5, v13, v27
	v_fmac_f32_e32 v28, -0.5, v21
	v_add_f32_e32 v13, v17, v19
	v_sub_f32_e32 v21, v12, v15
	v_add_f32_e32 v23, v18, v12
	v_sub_f32_e32 v19, v19, v14
	v_fma_f32 v17, -0.5, v20, v17
	v_fmac_f32_e32 v18, -0.5, v24
	v_fmamk_f32 v11, v16, 0xbf5db3d7, v27
	v_fmamk_f32 v12, v22, 0x3f5db3d7, v28
	v_fmac_f32_e32 v27, 0x3f5db3d7, v16
	v_fmac_f32_e32 v28, 0xbf5db3d7, v22
	v_add_f32_e32 v13, v13, v14
	v_add_f32_e32 v14, v23, v15
	v_fmamk_f32 v15, v21, 0xbf5db3d7, v17
	v_fmamk_f32 v16, v19, 0x3f5db3d7, v18
	v_fmac_f32_e32 v17, 0x3f5db3d7, v21
	v_fmac_f32_e32 v18, 0xbf5db3d7, v19
	ds_write2_b64 v29, v[9:10], v[11:12] offset1:11
	ds_write_b64 v29, v[27:28] offset:176
	ds_write2_b64 v6, v[13:14], v[15:16] offset1:11
	ds_write_b64 v6, v[17:18] offset:176
	s_waitcnt lgkmcnt(0)
	s_barrier
	buffer_gl0_inv
	s_clause 0x2
	global_load_dwordx4 v[9:12], v32, s[12:13] offset:176
	global_load_dwordx4 v[13:16], v32, s[12:13] offset:192
	global_load_dwordx2 v[29:30], v32, s[12:13] offset:208
	v_add_nc_u32_e32 v6, 0x400, v7
	ds_read2_b64 v[17:20], v7 offset1:99
	ds_read2_b64 v[21:24], v6 offset0:70 offset1:169
	ds_read2_b64 v[25:28], v8 offset0:140 offset1:239
	v_mov_b32_e32 v32, 0x630
	s_waitcnt vmcnt(0) lgkmcnt(0)
	s_barrier
	buffer_gl0_inv
	v_mul_u32_u24_sdwa v31, v31, v32 dst_sel:DWORD dst_unused:UNUSED_PAD src0_sel:WORD_0 src1_sel:DWORD
	v_lshlrev_b32_sdwa v32, v34, v33 dst_sel:DWORD dst_unused:UNUSED_PAD src0_sel:DWORD src1_sel:BYTE_0
	v_add3_u32 v31, 0, v31, v32
	v_mul_f32_e32 v32, v10, v20
	v_mul_f32_e32 v10, v10, v19
	;; [unrolled: 1-line block ×10, first 2 shown]
	v_fmac_f32_e32 v32, v9, v19
	v_fma_f32 v19, v9, v20, -v10
	v_fma_f32 v9, v11, v22, -v12
	;; [unrolled: 1-line block ×4, first 2 shown]
	v_fmac_f32_e32 v33, v11, v21
	v_fmac_f32_e32 v34, v13, v23
	;; [unrolled: 1-line block ×3, first 2 shown]
	v_fma_f32 v11, v15, v26, -v16
	v_fmac_f32_e32 v36, v29, v27
	v_sub_f32_e32 v23, v10, v12
	v_add_f32_e32 v24, v19, v10
	v_add_f32_e32 v10, v10, v12
	v_add_f32_e32 v14, v33, v35
	v_sub_f32_e32 v15, v9, v11
	v_add_f32_e32 v16, v18, v9
	v_add_f32_e32 v9, v9, v11
	;; [unrolled: 1-line block ×3, first 2 shown]
	v_sub_f32_e32 v25, v34, v36
	v_fmac_f32_e32 v19, -0.5, v10
	v_sub_f32_e32 v20, v33, v35
	v_add_f32_e32 v21, v32, v34
	v_fma_f32 v26, -0.5, v14, v17
	v_add_f32_e32 v14, v16, v11
	v_fma_f32 v27, -0.5, v9, v18
	v_fmac_f32_e32 v32, -0.5, v22
	v_fmamk_f32 v16, v25, 0x3f5db3d7, v19
	v_fmac_f32_e32 v19, 0xbf5db3d7, v25
	v_add_f32_e32 v13, v17, v33
	v_fmamk_f32 v17, v15, 0xbf5db3d7, v26
	v_fmac_f32_e32 v26, 0x3f5db3d7, v15
	v_fmamk_f32 v18, v20, 0x3f5db3d7, v27
	v_fmac_f32_e32 v27, 0xbf5db3d7, v20
	v_fmamk_f32 v15, v23, 0xbf5db3d7, v32
	v_mul_f32_e32 v20, 0xbf5db3d7, v16
	v_mul_f32_e32 v22, 0.5, v16
	v_add_f32_e32 v11, v21, v36
	v_fmac_f32_e32 v32, 0x3f5db3d7, v23
	v_mul_f32_e32 v21, 0xbf5db3d7, v19
	v_mul_f32_e32 v23, -0.5, v19
	v_add_f32_e32 v13, v13, v35
	v_add_f32_e32 v12, v24, v12
	v_fmac_f32_e32 v20, 0.5, v15
	v_fmac_f32_e32 v22, 0x3f5db3d7, v15
	v_fmac_f32_e32 v21, -0.5, v32
	v_fmac_f32_e32 v23, 0x3f5db3d7, v32
	v_add_f32_e32 v9, v13, v11
	v_add_f32_e32 v10, v14, v12
	v_sub_f32_e32 v11, v13, v11
	v_sub_f32_e32 v12, v14, v12
	v_add_f32_e32 v13, v17, v20
	v_add_f32_e32 v14, v18, v22
	;; [unrolled: 1-line block ×4, first 2 shown]
	v_sub_f32_e32 v17, v17, v20
	v_sub_f32_e32 v19, v26, v21
	;; [unrolled: 1-line block ×4, first 2 shown]
	ds_write2_b64 v31, v[9:10], v[13:14] offset1:33
	ds_write2_b64 v31, v[15:16], v[11:12] offset0:66 offset1:99
	ds_write2_b64 v31, v[17:18], v[19:20] offset0:132 offset1:165
	s_waitcnt lgkmcnt(0)
	s_barrier
	buffer_gl0_inv
	s_and_saveexec_b32 s2, vcc_lo
	s_cbranch_execz .LBB0_15
; %bb.14:
	v_lshlrev_b32_e32 v25, 1, v0
	v_mov_b32_e32 v26, 0
	v_mul_lo_u32 v17, s1, v3
	v_mul_lo_u32 v18, s0, v4
	v_mad_u64_u32 v[3:4], null, s0, v3, 0
	v_lshlrev_b64 v[9:10], 3, v[25:26]
	v_lshlrev_b32_e32 v25, 1, v5
	ds_read2_b64 v[21:24], v8 offset0:140 offset1:239
	v_add3_u32 v4, v4, v18, v17
	v_lshlrev_b64 v[13:14], 3, v[25:26]
	v_add_co_u32 v9, vcc_lo, s12, v9
	v_add_co_ci_u32_e32 v10, vcc_lo, s13, v10, vcc_lo
	v_lshlrev_b64 v[3:4], 3, v[3:4]
	v_add_co_u32 v13, vcc_lo, s12, v13
	global_load_dwordx4 v[9:12], v[9:10], off offset:1496
	v_add_co_ci_u32_e32 v14, vcc_lo, s13, v14, vcc_lo
	v_mul_hi_u32 v25, 0xa57eb503, v0
	ds_read2_b64 v[17:20], v6 offset0:70 offset1:169
	v_mov_b32_e32 v6, v26
	global_load_dwordx4 v[13:16], v[13:14], off offset:1496
	v_lshlrev_b64 v[0:1], 3, v[1:2]
	v_add_co_u32 v3, vcc_lo, s10, v3
	v_add_co_ci_u32_e32 v4, vcc_lo, s11, v4, vcc_lo
	v_lshlrev_b64 v[5:6], 3, v[5:6]
	v_add_co_u32 v0, vcc_lo, v3, v0
	v_lshrrev_b32_e32 v2, 7, v25
	v_add_co_ci_u32_e32 v1, vcc_lo, v4, v1, vcc_lo
	v_add_co_u32 v4, vcc_lo, v0, v5
	v_mul_u32_u24_e32 v25, 0x18c, v2
	v_add_co_ci_u32_e32 v5, vcc_lo, v1, v6, vcc_lo
	ds_read2_b64 v[0:3], v7 offset1:99
	v_lshlrev_b64 v[25:26], 3, v[25:26]
	v_add_co_u32 v6, vcc_lo, v4, v25
	v_add_co_ci_u32_e32 v7, vcc_lo, v5, v26, vcc_lo
	v_add_co_u32 v25, vcc_lo, 0x800, v4
	v_add_co_ci_u32_e32 v26, vcc_lo, 0, v5, vcc_lo
	;; [unrolled: 2-line block ×4, first 2 shown]
	s_waitcnt vmcnt(1) lgkmcnt(1)
	v_mul_f32_e32 v8, v10, v19
	v_mul_f32_e32 v31, v12, v23
	;; [unrolled: 1-line block ×4, first 2 shown]
	v_fma_f32 v8, v9, v20, -v8
	v_fma_f32 v20, v11, v24, -v31
	v_fmac_f32_e32 v10, v9, v19
	v_fmac_f32_e32 v12, v11, v23
	s_waitcnt vmcnt(0)
	v_mul_f32_e32 v9, v14, v17
	v_mul_f32_e32 v11, v16, v21
	;; [unrolled: 1-line block ×4, first 2 shown]
	v_add_f32_e32 v19, v8, v20
	v_sub_f32_e32 v23, v10, v12
	v_add_f32_e32 v24, v10, v12
	v_sub_f32_e32 v31, v8, v20
	s_waitcnt lgkmcnt(0)
	v_add_f32_e32 v8, v3, v8
	v_add_f32_e32 v10, v2, v10
	v_fma_f32 v18, v13, v18, -v9
	v_fma_f32 v22, v15, v22, -v11
	v_fmac_f32_e32 v14, v13, v17
	v_fmac_f32_e32 v16, v15, v21
	v_add_f32_e32 v9, v8, v20
	v_add_f32_e32 v8, v10, v12
	;; [unrolled: 1-line block ×5, first 2 shown]
	v_sub_f32_e32 v17, v14, v16
	v_add_f32_e32 v14, v14, v0
	v_fma_f32 v3, -0.5, v19, v3
	v_sub_f32_e32 v19, v18, v22
	v_fma_f32 v1, -0.5, v10, v1
	v_fma_f32 v0, -0.5, v11, v0
	;; [unrolled: 1-line block ×3, first 2 shown]
	v_add_f32_e32 v13, v12, v22
	v_add_f32_e32 v12, v14, v16
	v_fmamk_f32 v15, v17, 0xbf5db3d7, v1
	v_fmamk_f32 v14, v19, 0x3f5db3d7, v0
	v_fmac_f32_e32 v1, 0x3f5db3d7, v17
	v_fmac_f32_e32 v0, 0xbf5db3d7, v19
	v_fmamk_f32 v11, v23, 0xbf5db3d7, v3
	v_fmamk_f32 v10, v31, 0x3f5db3d7, v2
	v_fmac_f32_e32 v3, 0x3f5db3d7, v23
	v_fmac_f32_e32 v2, 0xbf5db3d7, v31
	global_store_dwordx2 v[4:5], v[12:13], off
	global_store_dwordx2 v[4:5], v[0:1], off offset:1584
	global_store_dwordx2 v[25:26], v[14:15], off offset:1120
	global_store_dwordx2 v[6:7], v[8:9], off offset:792
	global_store_dwordx2 v[27:28], v[2:3], off offset:1584
	global_store_dwordx2 v[29:30], v[10:11], off offset:1912
.LBB0_15:
	s_endpgm
	.section	.rodata,"a",@progbits
	.p2align	6, 0x0
	.amdhsa_kernel fft_rtc_back_len594_factors_11_3_6_3_wgs_99_tpt_99_sp_op_CI_CI_unitstride_sbrr_dirReg
		.amdhsa_group_segment_fixed_size 0
		.amdhsa_private_segment_fixed_size 0
		.amdhsa_kernarg_size 104
		.amdhsa_user_sgpr_count 6
		.amdhsa_user_sgpr_private_segment_buffer 1
		.amdhsa_user_sgpr_dispatch_ptr 0
		.amdhsa_user_sgpr_queue_ptr 0
		.amdhsa_user_sgpr_kernarg_segment_ptr 1
		.amdhsa_user_sgpr_dispatch_id 0
		.amdhsa_user_sgpr_flat_scratch_init 0
		.amdhsa_user_sgpr_private_segment_size 0
		.amdhsa_wavefront_size32 1
		.amdhsa_uses_dynamic_stack 0
		.amdhsa_system_sgpr_private_segment_wavefront_offset 0
		.amdhsa_system_sgpr_workgroup_id_x 1
		.amdhsa_system_sgpr_workgroup_id_y 0
		.amdhsa_system_sgpr_workgroup_id_z 0
		.amdhsa_system_sgpr_workgroup_info 0
		.amdhsa_system_vgpr_workitem_id 0
		.amdhsa_next_free_vgpr 82
		.amdhsa_next_free_sgpr 27
		.amdhsa_reserve_vcc 1
		.amdhsa_reserve_flat_scratch 0
		.amdhsa_float_round_mode_32 0
		.amdhsa_float_round_mode_16_64 0
		.amdhsa_float_denorm_mode_32 3
		.amdhsa_float_denorm_mode_16_64 3
		.amdhsa_dx10_clamp 1
		.amdhsa_ieee_mode 1
		.amdhsa_fp16_overflow 0
		.amdhsa_workgroup_processor_mode 1
		.amdhsa_memory_ordered 1
		.amdhsa_forward_progress 0
		.amdhsa_shared_vgpr_count 0
		.amdhsa_exception_fp_ieee_invalid_op 0
		.amdhsa_exception_fp_denorm_src 0
		.amdhsa_exception_fp_ieee_div_zero 0
		.amdhsa_exception_fp_ieee_overflow 0
		.amdhsa_exception_fp_ieee_underflow 0
		.amdhsa_exception_fp_ieee_inexact 0
		.amdhsa_exception_int_div_zero 0
	.end_amdhsa_kernel
	.text
.Lfunc_end0:
	.size	fft_rtc_back_len594_factors_11_3_6_3_wgs_99_tpt_99_sp_op_CI_CI_unitstride_sbrr_dirReg, .Lfunc_end0-fft_rtc_back_len594_factors_11_3_6_3_wgs_99_tpt_99_sp_op_CI_CI_unitstride_sbrr_dirReg
                                        ; -- End function
	.section	.AMDGPU.csdata,"",@progbits
; Kernel info:
; codeLenInByte = 5280
; NumSgprs: 29
; NumVgprs: 82
; ScratchSize: 0
; MemoryBound: 0
; FloatMode: 240
; IeeeMode: 1
; LDSByteSize: 0 bytes/workgroup (compile time only)
; SGPRBlocks: 3
; VGPRBlocks: 10
; NumSGPRsForWavesPerEU: 29
; NumVGPRsForWavesPerEU: 82
; Occupancy: 10
; WaveLimiterHint : 1
; COMPUTE_PGM_RSRC2:SCRATCH_EN: 0
; COMPUTE_PGM_RSRC2:USER_SGPR: 6
; COMPUTE_PGM_RSRC2:TRAP_HANDLER: 0
; COMPUTE_PGM_RSRC2:TGID_X_EN: 1
; COMPUTE_PGM_RSRC2:TGID_Y_EN: 0
; COMPUTE_PGM_RSRC2:TGID_Z_EN: 0
; COMPUTE_PGM_RSRC2:TIDIG_COMP_CNT: 0
	.text
	.p2alignl 6, 3214868480
	.fill 48, 4, 3214868480
	.type	__hip_cuid_6185be64ae949af8,@object ; @__hip_cuid_6185be64ae949af8
	.section	.bss,"aw",@nobits
	.globl	__hip_cuid_6185be64ae949af8
__hip_cuid_6185be64ae949af8:
	.byte	0                               ; 0x0
	.size	__hip_cuid_6185be64ae949af8, 1

	.ident	"AMD clang version 19.0.0git (https://github.com/RadeonOpenCompute/llvm-project roc-6.4.0 25133 c7fe45cf4b819c5991fe208aaa96edf142730f1d)"
	.section	".note.GNU-stack","",@progbits
	.addrsig
	.addrsig_sym __hip_cuid_6185be64ae949af8
	.amdgpu_metadata
---
amdhsa.kernels:
  - .args:
      - .actual_access:  read_only
        .address_space:  global
        .offset:         0
        .size:           8
        .value_kind:     global_buffer
      - .offset:         8
        .size:           8
        .value_kind:     by_value
      - .actual_access:  read_only
        .address_space:  global
        .offset:         16
        .size:           8
        .value_kind:     global_buffer
      - .actual_access:  read_only
        .address_space:  global
        .offset:         24
        .size:           8
        .value_kind:     global_buffer
      - .actual_access:  read_only
        .address_space:  global
        .offset:         32
        .size:           8
        .value_kind:     global_buffer
      - .offset:         40
        .size:           8
        .value_kind:     by_value
      - .actual_access:  read_only
        .address_space:  global
        .offset:         48
        .size:           8
        .value_kind:     global_buffer
      - .actual_access:  read_only
        .address_space:  global
        .offset:         56
        .size:           8
        .value_kind:     global_buffer
      - .offset:         64
        .size:           4
        .value_kind:     by_value
      - .actual_access:  read_only
        .address_space:  global
        .offset:         72
        .size:           8
        .value_kind:     global_buffer
      - .actual_access:  read_only
        .address_space:  global
        .offset:         80
        .size:           8
        .value_kind:     global_buffer
      - .actual_access:  read_only
        .address_space:  global
        .offset:         88
        .size:           8
        .value_kind:     global_buffer
      - .actual_access:  write_only
        .address_space:  global
        .offset:         96
        .size:           8
        .value_kind:     global_buffer
    .group_segment_fixed_size: 0
    .kernarg_segment_align: 8
    .kernarg_segment_size: 104
    .language:       OpenCL C
    .language_version:
      - 2
      - 0
    .max_flat_workgroup_size: 99
    .name:           fft_rtc_back_len594_factors_11_3_6_3_wgs_99_tpt_99_sp_op_CI_CI_unitstride_sbrr_dirReg
    .private_segment_fixed_size: 0
    .sgpr_count:     29
    .sgpr_spill_count: 0
    .symbol:         fft_rtc_back_len594_factors_11_3_6_3_wgs_99_tpt_99_sp_op_CI_CI_unitstride_sbrr_dirReg.kd
    .uniform_work_group_size: 1
    .uses_dynamic_stack: false
    .vgpr_count:     82
    .vgpr_spill_count: 0
    .wavefront_size: 32
    .workgroup_processor_mode: 1
amdhsa.target:   amdgcn-amd-amdhsa--gfx1030
amdhsa.version:
  - 1
  - 2
...

	.end_amdgpu_metadata
